;; amdgpu-corpus repo=ROCm/rocFFT kind=compiled arch=gfx1100 opt=O3
	.text
	.amdgcn_target "amdgcn-amd-amdhsa--gfx1100"
	.amdhsa_code_object_version 6
	.protected	fft_rtc_back_len1350_factors_5_10_3_3_3_wgs_135_tpt_135_halfLds_dp_ip_CI_unitstride_sbrr_R2C_dirReg ; -- Begin function fft_rtc_back_len1350_factors_5_10_3_3_3_wgs_135_tpt_135_halfLds_dp_ip_CI_unitstride_sbrr_R2C_dirReg
	.globl	fft_rtc_back_len1350_factors_5_10_3_3_3_wgs_135_tpt_135_halfLds_dp_ip_CI_unitstride_sbrr_R2C_dirReg
	.p2align	8
	.type	fft_rtc_back_len1350_factors_5_10_3_3_3_wgs_135_tpt_135_halfLds_dp_ip_CI_unitstride_sbrr_R2C_dirReg,@function
fft_rtc_back_len1350_factors_5_10_3_3_3_wgs_135_tpt_135_halfLds_dp_ip_CI_unitstride_sbrr_R2C_dirReg: ; @fft_rtc_back_len1350_factors_5_10_3_3_3_wgs_135_tpt_135_halfLds_dp_ip_CI_unitstride_sbrr_R2C_dirReg
; %bb.0:
	s_clause 0x2
	s_load_b128 s[4:7], s[0:1], 0x0
	s_load_b64 s[8:9], s[0:1], 0x50
	s_load_b64 s[10:11], s[0:1], 0x18
	v_mul_u32_u24_e32 v1, 0x1e6, v0
	v_mov_b32_e32 v3, 0
	v_mov_b32_e32 v4, 0
	s_delay_alu instid0(VALU_DEP_3) | instskip(SKIP_1) | instid1(VALU_DEP_1)
	v_lshrrev_b32_e32 v2, 16, v1
	v_mov_b32_e32 v1, 0
	v_dual_mov_b32 v6, v1 :: v_dual_add_nc_u32 v5, s15, v2
	s_waitcnt lgkmcnt(0)
	v_cmp_lt_u64_e64 s2, s[6:7], 2
	s_delay_alu instid0(VALU_DEP_1)
	s_and_b32 vcc_lo, exec_lo, s2
	s_cbranch_vccnz .LBB0_8
; %bb.1:
	s_load_b64 s[2:3], s[0:1], 0x10
	v_mov_b32_e32 v3, 0
	s_add_u32 s12, s10, 8
	v_mov_b32_e32 v4, 0
	s_addc_u32 s13, s11, 0
	s_mov_b64 s[16:17], 1
	s_waitcnt lgkmcnt(0)
	s_add_u32 s14, s2, 8
	s_addc_u32 s15, s3, 0
.LBB0_2:                                ; =>This Inner Loop Header: Depth=1
	s_load_b64 s[18:19], s[14:15], 0x0
                                        ; implicit-def: $vgpr7_vgpr8
	s_mov_b32 s2, exec_lo
	s_waitcnt lgkmcnt(0)
	v_or_b32_e32 v2, s19, v6
	s_delay_alu instid0(VALU_DEP_1)
	v_cmpx_ne_u64_e32 0, v[1:2]
	s_xor_b32 s3, exec_lo, s2
	s_cbranch_execz .LBB0_4
; %bb.3:                                ;   in Loop: Header=BB0_2 Depth=1
	v_cvt_f32_u32_e32 v2, s18
	v_cvt_f32_u32_e32 v7, s19
	s_sub_u32 s2, 0, s18
	s_subb_u32 s20, 0, s19
	s_delay_alu instid0(VALU_DEP_1) | instskip(NEXT) | instid1(VALU_DEP_1)
	v_fmac_f32_e32 v2, 0x4f800000, v7
	v_rcp_f32_e32 v2, v2
	s_waitcnt_depctr 0xfff
	v_mul_f32_e32 v2, 0x5f7ffffc, v2
	s_delay_alu instid0(VALU_DEP_1) | instskip(NEXT) | instid1(VALU_DEP_1)
	v_mul_f32_e32 v7, 0x2f800000, v2
	v_trunc_f32_e32 v7, v7
	s_delay_alu instid0(VALU_DEP_1) | instskip(SKIP_1) | instid1(VALU_DEP_2)
	v_fmac_f32_e32 v2, 0xcf800000, v7
	v_cvt_u32_f32_e32 v7, v7
	v_cvt_u32_f32_e32 v2, v2
	s_delay_alu instid0(VALU_DEP_2) | instskip(NEXT) | instid1(VALU_DEP_2)
	v_mul_lo_u32 v8, s2, v7
	v_mul_hi_u32 v9, s2, v2
	v_mul_lo_u32 v10, s20, v2
	s_delay_alu instid0(VALU_DEP_2) | instskip(SKIP_1) | instid1(VALU_DEP_2)
	v_add_nc_u32_e32 v8, v9, v8
	v_mul_lo_u32 v9, s2, v2
	v_add_nc_u32_e32 v8, v8, v10
	s_delay_alu instid0(VALU_DEP_2) | instskip(NEXT) | instid1(VALU_DEP_2)
	v_mul_hi_u32 v10, v2, v9
	v_mul_lo_u32 v11, v2, v8
	v_mul_hi_u32 v12, v2, v8
	v_mul_hi_u32 v13, v7, v9
	v_mul_lo_u32 v9, v7, v9
	v_mul_hi_u32 v14, v7, v8
	v_mul_lo_u32 v8, v7, v8
	v_add_co_u32 v10, vcc_lo, v10, v11
	v_add_co_ci_u32_e32 v11, vcc_lo, 0, v12, vcc_lo
	s_delay_alu instid0(VALU_DEP_2) | instskip(NEXT) | instid1(VALU_DEP_2)
	v_add_co_u32 v9, vcc_lo, v10, v9
	v_add_co_ci_u32_e32 v9, vcc_lo, v11, v13, vcc_lo
	v_add_co_ci_u32_e32 v10, vcc_lo, 0, v14, vcc_lo
	s_delay_alu instid0(VALU_DEP_2) | instskip(NEXT) | instid1(VALU_DEP_2)
	v_add_co_u32 v8, vcc_lo, v9, v8
	v_add_co_ci_u32_e32 v9, vcc_lo, 0, v10, vcc_lo
	s_delay_alu instid0(VALU_DEP_2) | instskip(NEXT) | instid1(VALU_DEP_2)
	v_add_co_u32 v2, vcc_lo, v2, v8
	v_add_co_ci_u32_e32 v7, vcc_lo, v7, v9, vcc_lo
	s_delay_alu instid0(VALU_DEP_2) | instskip(SKIP_1) | instid1(VALU_DEP_3)
	v_mul_hi_u32 v8, s2, v2
	v_mul_lo_u32 v10, s20, v2
	v_mul_lo_u32 v9, s2, v7
	s_delay_alu instid0(VALU_DEP_1) | instskip(SKIP_1) | instid1(VALU_DEP_2)
	v_add_nc_u32_e32 v8, v8, v9
	v_mul_lo_u32 v9, s2, v2
	v_add_nc_u32_e32 v8, v8, v10
	s_delay_alu instid0(VALU_DEP_2) | instskip(NEXT) | instid1(VALU_DEP_2)
	v_mul_hi_u32 v10, v2, v9
	v_mul_lo_u32 v11, v2, v8
	v_mul_hi_u32 v12, v2, v8
	v_mul_hi_u32 v13, v7, v9
	v_mul_lo_u32 v9, v7, v9
	v_mul_hi_u32 v14, v7, v8
	v_mul_lo_u32 v8, v7, v8
	v_add_co_u32 v10, vcc_lo, v10, v11
	v_add_co_ci_u32_e32 v11, vcc_lo, 0, v12, vcc_lo
	s_delay_alu instid0(VALU_DEP_2) | instskip(NEXT) | instid1(VALU_DEP_2)
	v_add_co_u32 v9, vcc_lo, v10, v9
	v_add_co_ci_u32_e32 v9, vcc_lo, v11, v13, vcc_lo
	v_add_co_ci_u32_e32 v10, vcc_lo, 0, v14, vcc_lo
	s_delay_alu instid0(VALU_DEP_2) | instskip(NEXT) | instid1(VALU_DEP_2)
	v_add_co_u32 v8, vcc_lo, v9, v8
	v_add_co_ci_u32_e32 v9, vcc_lo, 0, v10, vcc_lo
	s_delay_alu instid0(VALU_DEP_2) | instskip(NEXT) | instid1(VALU_DEP_2)
	v_add_co_u32 v2, vcc_lo, v2, v8
	v_add_co_ci_u32_e32 v13, vcc_lo, v7, v9, vcc_lo
	s_delay_alu instid0(VALU_DEP_2) | instskip(SKIP_1) | instid1(VALU_DEP_3)
	v_mul_hi_u32 v14, v5, v2
	v_mad_u64_u32 v[9:10], null, v6, v2, 0
	v_mad_u64_u32 v[7:8], null, v5, v13, 0
	;; [unrolled: 1-line block ×3, first 2 shown]
	s_delay_alu instid0(VALU_DEP_2) | instskip(NEXT) | instid1(VALU_DEP_3)
	v_add_co_u32 v2, vcc_lo, v14, v7
	v_add_co_ci_u32_e32 v7, vcc_lo, 0, v8, vcc_lo
	s_delay_alu instid0(VALU_DEP_2) | instskip(NEXT) | instid1(VALU_DEP_2)
	v_add_co_u32 v2, vcc_lo, v2, v9
	v_add_co_ci_u32_e32 v2, vcc_lo, v7, v10, vcc_lo
	v_add_co_ci_u32_e32 v7, vcc_lo, 0, v12, vcc_lo
	s_delay_alu instid0(VALU_DEP_2) | instskip(NEXT) | instid1(VALU_DEP_2)
	v_add_co_u32 v2, vcc_lo, v2, v11
	v_add_co_ci_u32_e32 v9, vcc_lo, 0, v7, vcc_lo
	s_delay_alu instid0(VALU_DEP_2) | instskip(SKIP_1) | instid1(VALU_DEP_3)
	v_mul_lo_u32 v10, s19, v2
	v_mad_u64_u32 v[7:8], null, s18, v2, 0
	v_mul_lo_u32 v11, s18, v9
	s_delay_alu instid0(VALU_DEP_2) | instskip(NEXT) | instid1(VALU_DEP_2)
	v_sub_co_u32 v7, vcc_lo, v5, v7
	v_add3_u32 v8, v8, v11, v10
	s_delay_alu instid0(VALU_DEP_1) | instskip(NEXT) | instid1(VALU_DEP_1)
	v_sub_nc_u32_e32 v10, v6, v8
	v_subrev_co_ci_u32_e64 v10, s2, s19, v10, vcc_lo
	v_add_co_u32 v11, s2, v2, 2
	s_delay_alu instid0(VALU_DEP_1) | instskip(SKIP_3) | instid1(VALU_DEP_3)
	v_add_co_ci_u32_e64 v12, s2, 0, v9, s2
	v_sub_co_u32 v13, s2, v7, s18
	v_sub_co_ci_u32_e32 v8, vcc_lo, v6, v8, vcc_lo
	v_subrev_co_ci_u32_e64 v10, s2, 0, v10, s2
	v_cmp_le_u32_e32 vcc_lo, s18, v13
	s_delay_alu instid0(VALU_DEP_3) | instskip(SKIP_1) | instid1(VALU_DEP_4)
	v_cmp_eq_u32_e64 s2, s19, v8
	v_cndmask_b32_e64 v13, 0, -1, vcc_lo
	v_cmp_le_u32_e32 vcc_lo, s19, v10
	v_cndmask_b32_e64 v14, 0, -1, vcc_lo
	v_cmp_le_u32_e32 vcc_lo, s18, v7
	;; [unrolled: 2-line block ×3, first 2 shown]
	v_cndmask_b32_e64 v15, 0, -1, vcc_lo
	v_cmp_eq_u32_e32 vcc_lo, s19, v10
	s_delay_alu instid0(VALU_DEP_2) | instskip(SKIP_3) | instid1(VALU_DEP_3)
	v_cndmask_b32_e64 v7, v15, v7, s2
	v_cndmask_b32_e32 v10, v14, v13, vcc_lo
	v_add_co_u32 v13, vcc_lo, v2, 1
	v_add_co_ci_u32_e32 v14, vcc_lo, 0, v9, vcc_lo
	v_cmp_ne_u32_e32 vcc_lo, 0, v10
	s_delay_alu instid0(VALU_DEP_2) | instskip(NEXT) | instid1(VALU_DEP_4)
	v_cndmask_b32_e32 v8, v14, v12, vcc_lo
	v_cndmask_b32_e32 v10, v13, v11, vcc_lo
	v_cmp_ne_u32_e32 vcc_lo, 0, v7
	s_delay_alu instid0(VALU_DEP_2)
	v_dual_cndmask_b32 v7, v2, v10 :: v_dual_cndmask_b32 v8, v9, v8
.LBB0_4:                                ;   in Loop: Header=BB0_2 Depth=1
	s_and_not1_saveexec_b32 s2, s3
	s_cbranch_execz .LBB0_6
; %bb.5:                                ;   in Loop: Header=BB0_2 Depth=1
	v_cvt_f32_u32_e32 v2, s18
	s_sub_i32 s3, 0, s18
	s_delay_alu instid0(VALU_DEP_1) | instskip(SKIP_2) | instid1(VALU_DEP_1)
	v_rcp_iflag_f32_e32 v2, v2
	s_waitcnt_depctr 0xfff
	v_mul_f32_e32 v2, 0x4f7ffffe, v2
	v_cvt_u32_f32_e32 v2, v2
	s_delay_alu instid0(VALU_DEP_1) | instskip(NEXT) | instid1(VALU_DEP_1)
	v_mul_lo_u32 v7, s3, v2
	v_mul_hi_u32 v7, v2, v7
	s_delay_alu instid0(VALU_DEP_1) | instskip(NEXT) | instid1(VALU_DEP_1)
	v_add_nc_u32_e32 v2, v2, v7
	v_mul_hi_u32 v2, v5, v2
	s_delay_alu instid0(VALU_DEP_1) | instskip(SKIP_1) | instid1(VALU_DEP_2)
	v_mul_lo_u32 v7, v2, s18
	v_add_nc_u32_e32 v8, 1, v2
	v_sub_nc_u32_e32 v7, v5, v7
	s_delay_alu instid0(VALU_DEP_1) | instskip(SKIP_1) | instid1(VALU_DEP_2)
	v_subrev_nc_u32_e32 v9, s18, v7
	v_cmp_le_u32_e32 vcc_lo, s18, v7
	v_dual_cndmask_b32 v7, v7, v9 :: v_dual_cndmask_b32 v2, v2, v8
	s_delay_alu instid0(VALU_DEP_1) | instskip(NEXT) | instid1(VALU_DEP_2)
	v_cmp_le_u32_e32 vcc_lo, s18, v7
	v_add_nc_u32_e32 v8, 1, v2
	s_delay_alu instid0(VALU_DEP_1)
	v_dual_cndmask_b32 v7, v2, v8 :: v_dual_mov_b32 v8, v1
.LBB0_6:                                ;   in Loop: Header=BB0_2 Depth=1
	s_or_b32 exec_lo, exec_lo, s2
	s_load_b64 s[2:3], s[12:13], 0x0
	s_delay_alu instid0(VALU_DEP_1) | instskip(NEXT) | instid1(VALU_DEP_2)
	v_mul_lo_u32 v2, v8, s18
	v_mul_lo_u32 v11, v7, s19
	v_mad_u64_u32 v[9:10], null, v7, s18, 0
	s_add_u32 s16, s16, 1
	s_addc_u32 s17, s17, 0
	s_add_u32 s12, s12, 8
	s_addc_u32 s13, s13, 0
	;; [unrolled: 2-line block ×3, first 2 shown]
	s_delay_alu instid0(VALU_DEP_1) | instskip(SKIP_1) | instid1(VALU_DEP_2)
	v_add3_u32 v2, v10, v11, v2
	v_sub_co_u32 v9, vcc_lo, v5, v9
	v_sub_co_ci_u32_e32 v2, vcc_lo, v6, v2, vcc_lo
	s_waitcnt lgkmcnt(0)
	s_delay_alu instid0(VALU_DEP_2) | instskip(NEXT) | instid1(VALU_DEP_2)
	v_mul_lo_u32 v10, s3, v9
	v_mul_lo_u32 v2, s2, v2
	v_mad_u64_u32 v[5:6], null, s2, v9, v[3:4]
	v_cmp_ge_u64_e64 s2, s[16:17], s[6:7]
	s_delay_alu instid0(VALU_DEP_1) | instskip(NEXT) | instid1(VALU_DEP_2)
	s_and_b32 vcc_lo, exec_lo, s2
	v_add3_u32 v4, v10, v6, v2
	s_delay_alu instid0(VALU_DEP_3)
	v_mov_b32_e32 v3, v5
	s_cbranch_vccnz .LBB0_9
; %bb.7:                                ;   in Loop: Header=BB0_2 Depth=1
	v_dual_mov_b32 v5, v7 :: v_dual_mov_b32 v6, v8
	s_branch .LBB0_2
.LBB0_8:
	v_dual_mov_b32 v8, v6 :: v_dual_mov_b32 v7, v5
.LBB0_9:
	s_lshl_b64 s[2:3], s[6:7], 3
	v_mul_hi_u32 v1, 0x1e573ad, v0
	s_add_u32 s2, s10, s2
	s_addc_u32 s3, s11, s3
	s_load_b64 s[0:1], s[0:1], 0x20
	s_load_b64 s[2:3], s[2:3], 0x0
	s_delay_alu instid0(VALU_DEP_1) | instskip(NEXT) | instid1(VALU_DEP_1)
	v_mul_u32_u24_e32 v1, 0x87, v1
	v_sub_nc_u32_e32 v48, v0, v1
	s_delay_alu instid0(VALU_DEP_1)
	v_add_nc_u32_e32 v50, 0x87, v48
	v_add_nc_u32_e32 v55, 0x10e, v48
	;; [unrolled: 1-line block ×3, first 2 shown]
	s_waitcnt lgkmcnt(0)
	v_cmp_gt_u64_e32 vcc_lo, s[0:1], v[7:8]
	v_mul_lo_u32 v2, s2, v8
	v_mul_lo_u32 v5, s3, v7
	v_mad_u64_u32 v[0:1], null, s2, v7, v[3:4]
	v_cmp_le_u64_e64 s0, s[0:1], v[7:8]
	s_delay_alu instid0(VALU_DEP_2) | instskip(NEXT) | instid1(VALU_DEP_2)
	v_add3_u32 v1, v5, v1, v2
	s_and_saveexec_b32 s1, s0
	s_delay_alu instid0(SALU_CYCLE_1)
	s_xor_b32 s0, exec_lo, s1
; %bb.10:
	v_add_nc_u32_e32 v50, 0x87, v48
	v_add_nc_u32_e32 v55, 0x10e, v48
	;; [unrolled: 1-line block ×3, first 2 shown]
; %bb.11:
	s_or_saveexec_b32 s1, s0
	v_lshlrev_b64 v[52:53], 4, v[0:1]
	v_lshl_add_u32 v60, v48, 4, 0
	s_xor_b32 exec_lo, exec_lo, s1
	s_cbranch_execz .LBB0_13
; %bb.12:
	v_mov_b32_e32 v49, 0
	s_delay_alu instid0(VALU_DEP_3) | instskip(NEXT) | instid1(VALU_DEP_1)
	v_add_co_u32 v2, s0, s8, v52
	v_add_co_ci_u32_e64 v3, s0, s9, v53, s0
	s_delay_alu instid0(VALU_DEP_3) | instskip(NEXT) | instid1(VALU_DEP_1)
	v_lshlrev_b64 v[0:1], 4, v[48:49]
	v_add_co_u32 v16, s0, v2, v0
	s_delay_alu instid0(VALU_DEP_1) | instskip(SKIP_4) | instid1(VALU_DEP_1)
	v_add_co_ci_u32_e64 v17, s0, v3, v1, s0
	s_clause 0x1
	global_load_b128 v[0:3], v[16:17], off
	global_load_b128 v[4:7], v[16:17], off offset:2160
	v_add_co_u32 v12, s0, 0x1000, v16
	v_add_co_ci_u32_e64 v13, s0, 0, v17, s0
	v_add_co_u32 v20, s0, 0x2000, v16
	s_delay_alu instid0(VALU_DEP_1) | instskip(SKIP_1) | instid1(VALU_DEP_1)
	v_add_co_ci_u32_e64 v21, s0, 0, v17, s0
	v_add_co_u32 v28, s0, 0x3000, v16
	v_add_co_ci_u32_e64 v29, s0, 0, v17, s0
	v_add_co_u32 v36, s0, 0x4000, v16
	s_delay_alu instid0(VALU_DEP_1)
	v_add_co_ci_u32_e64 v37, s0, 0, v17, s0
	s_clause 0x7
	global_load_b128 v[8:11], v[12:13], off offset:224
	global_load_b128 v[12:15], v[12:13], off offset:2384
	global_load_b128 v[16:19], v[20:21], off offset:448
	global_load_b128 v[20:23], v[20:21], off offset:2608
	global_load_b128 v[24:27], v[28:29], off offset:672
	global_load_b128 v[28:31], v[28:29], off offset:2832
	global_load_b128 v[32:35], v[36:37], off offset:896
	global_load_b128 v[36:39], v[36:37], off offset:3056
	s_waitcnt vmcnt(9)
	ds_store_b128 v60, v[0:3]
	s_waitcnt vmcnt(8)
	ds_store_b128 v60, v[4:7] offset:2160
	s_waitcnt vmcnt(7)
	ds_store_b128 v60, v[8:11] offset:4320
	;; [unrolled: 2-line block ×9, first 2 shown]
.LBB0_13:
	s_or_b32 exec_lo, exec_lo, s1
	s_waitcnt lgkmcnt(0)
	s_barrier
	buffer_gl0_inv
	ds_load_b128 v[0:3], v60
	ds_load_b128 v[4:7], v60 offset:4320
	ds_load_b128 v[8:11], v60 offset:8640
	ds_load_b128 v[12:15], v60 offset:12960
	ds_load_b128 v[16:19], v60 offset:17280
	ds_load_b128 v[20:23], v60 offset:6480
	ds_load_b128 v[24:27], v60 offset:10800
	ds_load_b128 v[28:31], v60 offset:15120
	ds_load_b128 v[32:35], v60 offset:19440
	ds_load_b128 v[36:39], v60 offset:2160
	s_mov_b32 s6, 0x134454ff
	s_mov_b32 s7, 0xbfee6f0e
	;; [unrolled: 1-line block ×10, first 2 shown]
	s_waitcnt lgkmcnt(0)
	v_add_f64 v[40:41], v[0:1], v[4:5]
	v_add_f64 v[42:43], v[2:3], v[6:7]
	;; [unrolled: 1-line block ×6, first 2 shown]
	v_add_f64 v[69:70], v[4:5], -v[8:9]
	v_add_f64 v[71:72], v[16:17], -v[12:13]
	;; [unrolled: 1-line block ×4, first 2 shown]
	v_add_f64 v[61:62], v[24:25], v[28:29]
	v_add_f64 v[63:64], v[20:21], v[32:33]
	;; [unrolled: 1-line block ×6, first 2 shown]
	v_add_f64 v[81:82], v[6:7], -v[18:19]
	v_add_f64 v[83:84], v[10:11], -v[14:15]
	;; [unrolled: 1-line block ×7, first 2 shown]
	s_barrier
	buffer_gl0_inv
	v_lshlrev_b32_e32 v51, 6, v50
	s_mov_b32 s14, 0x9b97f4a8
	s_mov_b32 s15, 0x3fe9e377
	;; [unrolled: 1-line block ×6, first 2 shown]
	v_add_f64 v[8:9], v[40:41], v[8:9]
	v_add_f64 v[10:11], v[42:43], v[10:11]
	v_add_f64 v[40:41], v[14:15], -v[18:19]
	v_fma_f64 v[44:45], v[44:45], -0.5, v[0:1]
	v_fma_f64 v[0:1], v[46:47], -0.5, v[0:1]
	v_fma_f64 v[46:47], v[56:57], -0.5, v[2:3]
	v_fma_f64 v[2:3], v[58:59], -0.5, v[2:3]
	v_add_f64 v[56:57], v[20:21], -v[24:25]
	v_add_f64 v[58:59], v[24:25], -v[20:21]
	v_add_f64 v[69:70], v[69:70], v[71:72]
	v_add_f64 v[71:72], v[32:33], -v[28:29]
	v_add_f64 v[73:74], v[73:74], v[75:76]
	v_add_f64 v[75:76], v[28:29], -v[32:33]
	v_add_f64 v[42:43], v[22:23], -v[34:35]
	v_fma_f64 v[61:62], v[61:62], -0.5, v[36:37]
	v_fma_f64 v[36:37], v[63:64], -0.5, v[36:37]
	;; [unrolled: 1-line block ×4, first 2 shown]
	v_add_f64 v[20:21], v[20:21], -v[32:33]
	v_add_f64 v[65:66], v[22:23], -v[26:27]
	v_add_f64 v[22:23], v[26:27], -v[22:23]
	v_add_f64 v[67:68], v[26:27], -v[30:31]
	v_add_f64 v[77:78], v[77:78], v[24:25]
	v_add_f64 v[26:27], v[79:80], v[26:27]
	v_add_f64 v[79:80], v[34:35], -v[30:31]
	v_add_f64 v[24:25], v[24:25], -v[28:29]
	v_add_f64 v[87:88], v[87:88], v[89:90]
	v_add_f64 v[89:90], v[30:31], -v[34:35]
	v_add_f64 v[10:11], v[10:11], v[14:15]
	v_add_f64 v[40:41], v[6:7], v[40:41]
	;; [unrolled: 1-line block ×3, first 2 shown]
	v_fma_f64 v[8:9], v[81:82], s[6:7], v[44:45]
	v_fma_f64 v[12:13], v[81:82], s[0:1], v[44:45]
	;; [unrolled: 1-line block ×6, first 2 shown]
	v_add_f64 v[71:72], v[56:57], v[71:72]
	v_and_b32_e32 v56, 0xff, v48
	v_add_f64 v[57:58], v[58:59], v[75:76]
	v_fma_f64 v[75:76], v[85:86], s[6:7], v[2:3]
	v_fma_f64 v[2:3], v[85:86], s[0:1], v[2:3]
	s_delay_alu instid0(VALU_DEP_4)
	v_mul_lo_u16 v49, 0xcd, v56
	v_add_f64 v[28:29], v[77:78], v[28:29]
	v_fma_f64 v[77:78], v[42:43], s[6:7], v[61:62]
	v_add_f64 v[65:66], v[65:66], v[79:80]
	v_fma_f64 v[61:62], v[42:43], s[0:1], v[61:62]
	v_fma_f64 v[79:80], v[67:68], s[0:1], v[36:37]
	;; [unrolled: 1-line block ×3, first 2 shown]
	v_add_f64 v[26:27], v[26:27], v[30:31]
	v_fma_f64 v[30:31], v[20:21], s[0:1], v[63:64]
	v_fma_f64 v[91:92], v[24:25], s[6:7], v[38:39]
	;; [unrolled: 1-line block ×4, first 2 shown]
	v_add_f64 v[89:90], v[22:23], v[89:90]
	v_fma_f64 v[22:23], v[83:84], s[10:11], v[8:9]
	v_fma_f64 v[12:13], v[83:84], s[2:3], v[12:13]
	;; [unrolled: 1-line block ×6, first 2 shown]
	v_add_f64 v[0:1], v[6:7], v[16:17]
	v_fma_f64 v[75:76], v[4:5], s[2:3], v[75:76]
	v_fma_f64 v[4:5], v[4:5], s[10:11], v[2:3]
	v_add_f64 v[2:3], v[10:11], v[18:19]
	v_add_f64 v[6:7], v[28:29], v[32:33]
	v_fma_f64 v[77:78], v[67:68], s[10:11], v[77:78]
	v_fma_f64 v[61:62], v[67:68], s[2:3], v[61:62]
	;; [unrolled: 1-line block ×4, first 2 shown]
	v_add_f64 v[8:9], v[26:27], v[34:35]
	v_fma_f64 v[42:43], v[24:25], s[2:3], v[30:31]
	v_fma_f64 v[79:80], v[20:21], s[2:3], v[91:92]
	;; [unrolled: 1-line block ×12, first 2 shown]
	v_lshrrev_b16 v4, 10, v49
	v_mad_i32_i24 v49, 0x50, v50, 0
	s_delay_alu instid0(VALU_DEP_2) | instskip(NEXT) | instid1(VALU_DEP_2)
	v_mul_lo_u16 v5, v4, 5
	v_sub_nc_u32_e32 v59, v49, v51
	v_and_b32_e32 v4, 0xffff, v4
	v_fma_f64 v[26:27], v[71:72], s[12:13], v[77:78]
	v_fma_f64 v[30:31], v[71:72], s[12:13], v[61:62]
	;; [unrolled: 1-line block ×4, first 2 shown]
	v_sub_nc_u16 v5, v48, v5
	v_fma_f64 v[28:29], v[65:66], s[12:13], v[42:43]
	v_fma_f64 v[36:37], v[89:90], s[12:13], v[79:80]
	;; [unrolled: 1-line block ×4, first 2 shown]
	v_and_b32_e32 v5, 0xff, v5
	v_lshl_add_u32 v43, v48, 6, v60
	v_lshl_add_u32 v62, v55, 4, 0
	;; [unrolled: 1-line block ×3, first 2 shown]
	ds_store_b128 v43, v[0:3]
	ds_store_b128 v43, v[10:13] offset:16
	ds_store_b128 v43, v[18:21] offset:32
	;; [unrolled: 1-line block ×4, first 2 shown]
	ds_store_b128 v49, v[6:9]
	ds_store_b128 v49, v[26:29] offset:16
	ds_store_b128 v49, v[34:37] offset:32
	;; [unrolled: 1-line block ×4, first 2 shown]
	v_mul_u32_u24_e32 v42, 9, v5
	s_waitcnt lgkmcnt(0)
	s_barrier
	buffer_gl0_inv
	v_mul_u32_u24_e32 v4, 0x320, v4
	v_lshlrev_b32_e32 v42, 4, v42
	s_clause 0x8
	global_load_b128 v[0:3], v42, s[4:5]
	global_load_b128 v[6:9], v42, s[4:5] offset:16
	global_load_b128 v[10:13], v42, s[4:5] offset:48
	;; [unrolled: 1-line block ×8, first 2 shown]
	ds_load_b128 v[38:41], v59
	ds_load_b128 v[42:45], v62
	ds_load_b128 v[63:66], v60 offset:8640
	ds_load_b128 v[67:70], v61
	ds_load_b128 v[71:74], v60 offset:12960
	ds_load_b128 v[75:78], v60
	v_lshlrev_b32_e32 v5, 4, v5
	s_delay_alu instid0(VALU_DEP_1)
	v_add3_u32 v4, 0, v4, v5
	s_waitcnt vmcnt(8) lgkmcnt(5)
	v_mul_f64 v[46:47], v[40:41], v[2:3]
	v_mul_f64 v[2:3], v[38:39], v[2:3]
	s_waitcnt vmcnt(7) lgkmcnt(4)
	v_mul_f64 v[57:58], v[44:45], v[8:9]
	v_mul_f64 v[8:9], v[42:43], v[8:9]
	;; [unrolled: 3-line block ×4, first 2 shown]
	v_fma_f64 v[46:47], v[38:39], v[0:1], v[46:47]
	v_fma_f64 v[81:82], v[40:41], v[0:1], -v[2:3]
	ds_load_b128 v[0:3], v60 offset:10800
	v_fma_f64 v[42:43], v[42:43], v[6:7], v[57:58]
	v_fma_f64 v[44:45], v[44:45], v[6:7], -v[8:9]
	ds_load_b128 v[6:9], v60 offset:17280
	ds_load_b128 v[38:41], v60 offset:15120
	v_fma_f64 v[57:58], v[63:64], v[10:11], v[79:80]
	v_fma_f64 v[63:64], v[65:66], v[10:11], -v[12:13]
	ds_load_b128 v[10:13], v60 offset:19440
	s_waitcnt vmcnt(3)
	v_mul_f64 v[79:80], v[69:70], v[24:25]
	v_fma_f64 v[71:72], v[71:72], v[14:15], v[83:84]
	v_fma_f64 v[14:15], v[73:74], v[14:15], -v[16:17]
	v_mul_f64 v[24:25], v[67:68], v[24:25]
	s_waitcnt vmcnt(0) lgkmcnt(0)
	s_barrier
	buffer_gl0_inv
	v_mul_f64 v[16:17], v[2:3], v[28:29]
	v_mul_f64 v[65:66], v[8:9], v[20:21]
	;; [unrolled: 1-line block ×5, first 2 shown]
	v_add_f64 v[87:88], v[75:76], v[42:43]
	v_fma_f64 v[6:7], v[6:7], v[18:19], v[65:66]
	v_fma_f64 v[8:9], v[8:9], v[18:19], -v[20:21]
	v_mul_f64 v[18:19], v[0:1], v[28:29]
	v_mul_f64 v[20:21], v[38:39], v[32:33]
	;; [unrolled: 1-line block ×3, first 2 shown]
	v_fma_f64 v[32:33], v[67:68], v[22:23], v[79:80]
	v_fma_f64 v[0:1], v[0:1], v[26:27], v[16:17]
	;; [unrolled: 1-line block ×4, first 2 shown]
	v_fma_f64 v[22:23], v[69:70], v[22:23], -v[24:25]
	v_add_f64 v[36:37], v[57:58], -v[42:43]
	v_add_f64 v[67:68], v[63:64], -v[44:45]
	v_add_f64 v[87:88], v[87:88], v[57:58]
	v_add_f64 v[24:25], v[42:43], v[6:7]
	v_add_f64 v[38:39], v[71:72], -v[6:7]
	v_fma_f64 v[2:3], v[2:3], v[26:27], -v[18:19]
	v_fma_f64 v[18:19], v[40:41], v[30:31], -v[20:21]
	v_add_f64 v[20:21], v[57:58], v[71:72]
	v_add_f64 v[26:27], v[63:64], v[14:15]
	;; [unrolled: 1-line block ×3, first 2 shown]
	v_fma_f64 v[12:13], v[12:13], v[34:35], -v[28:29]
	v_add_f64 v[28:29], v[42:43], -v[57:58]
	v_add_f64 v[34:35], v[6:7], -v[71:72]
	;; [unrolled: 1-line block ×7, first 2 shown]
	v_add_f64 v[83:84], v[0:1], v[16:17]
	v_add_f64 v[85:86], v[32:33], v[10:11]
	v_add_f64 v[57:58], v[57:58], -v[71:72]
	v_add_f64 v[71:72], v[87:88], v[71:72]
	v_add_f64 v[42:43], v[42:43], -v[6:7]
	v_fma_f64 v[24:25], v[24:25], -0.5, v[75:76]
	v_add_f64 v[36:37], v[36:37], v[38:39]
	v_add_f64 v[38:39], v[22:23], -v[2:3]
	v_fma_f64 v[20:21], v[20:21], -0.5, v[75:76]
	v_fma_f64 v[26:27], v[26:27], -0.5, v[77:78]
	;; [unrolled: 1-line block ×3, first 2 shown]
	v_add_f64 v[75:76], v[77:78], v[44:45]
	v_add_f64 v[77:78], v[0:1], -v[32:33]
	v_add_f64 v[28:29], v[28:29], v[34:35]
	v_add_f64 v[34:35], v[16:17], -v[10:11]
	;; [unrolled: 2-line block ×3, first 2 shown]
	v_add_f64 v[67:68], v[67:68], v[69:70]
	v_add_f64 v[69:70], v[2:3], v[18:19]
	;; [unrolled: 1-line block ×4, first 2 shown]
	v_fma_f64 v[83:84], v[83:84], -0.5, v[46:47]
	v_fma_f64 v[85:86], v[85:86], -0.5, v[46:47]
	v_add_f64 v[46:47], v[46:47], v[32:33]
	v_add_f64 v[32:33], v[32:33], -v[10:11]
	v_add_f64 v[44:45], v[44:45], -v[8:9]
	v_add_f64 v[71:72], v[71:72], v[6:7]
	v_add_f64 v[75:76], v[75:76], v[63:64]
	v_add_f64 v[63:64], v[63:64], -v[14:15]
	v_add_f64 v[34:35], v[77:78], v[34:35]
	v_add_f64 v[77:78], v[2:3], -v[22:23]
	;; [unrolled: 2-line block ×3, first 2 shown]
	v_fma_f64 v[69:70], v[69:70], -0.5, v[81:82]
	v_fma_f64 v[79:80], v[79:80], -0.5, v[81:82]
	v_add_f64 v[81:82], v[81:82], v[22:23]
	v_add_f64 v[22:23], v[22:23], -v[12:13]
	v_add_f64 v[46:47], v[46:47], v[0:1]
	v_add_f64 v[0:1], v[0:1], -v[16:17]
	v_add_f64 v[14:15], v[75:76], v[14:15]
	v_add_f64 v[65:66], v[77:78], v[65:66]
	v_fma_f64 v[77:78], v[32:33], s[0:1], v[69:70]
	v_fma_f64 v[69:70], v[32:33], s[6:7], v[69:70]
	v_add_f64 v[81:82], v[81:82], v[2:3]
	v_add_f64 v[2:3], v[2:3], -v[18:19]
	v_add_f64 v[16:17], v[46:47], v[16:17]
	v_fma_f64 v[87:88], v[0:1], s[6:7], v[79:80]
	v_fma_f64 v[79:80], v[0:1], s[0:1], v[79:80]
	v_add_f64 v[14:15], v[14:15], v[8:9]
	v_fma_f64 v[77:78], v[0:1], s[2:3], v[77:78]
	v_fma_f64 v[0:1], v[0:1], s[10:11], v[69:70]
	;; [unrolled: 1-line block ×4, first 2 shown]
	v_add_f64 v[18:19], v[81:82], v[18:19]
	v_add_f64 v[10:11], v[16:17], v[10:11]
	v_fma_f64 v[87:88], v[32:33], s[2:3], v[87:88]
	v_fma_f64 v[32:33], v[32:33], s[10:11], v[79:80]
	;; [unrolled: 1-line block ×20, first 2 shown]
	v_add_f64 v[12:13], v[18:19], v[12:13]
	v_add_f64 v[6:7], v[71:72], v[10:11]
	v_add_f64 v[10:11], v[71:72], -v[10:11]
	v_mul_f64 v[75:76], v[77:78], s[14:15]
	v_fma_f64 v[2:3], v[73:74], s[12:13], v[2:3]
	v_fma_f64 v[46:47], v[63:64], s[10:11], v[83:84]
	;; [unrolled: 1-line block ×9, first 2 shown]
	v_mul_f64 v[34:35], v[77:78], s[10:11]
	v_mul_f64 v[77:78], v[87:88], s[12:13]
	v_fma_f64 v[44:45], v[42:43], s[2:3], v[65:66]
	v_fma_f64 v[30:31], v[42:43], s[10:11], v[30:31]
	;; [unrolled: 1-line block ×3, first 2 shown]
	v_mul_f64 v[65:66], v[87:88], s[6:7]
	v_mul_f64 v[69:70], v[32:33], s[6:7]
	;; [unrolled: 1-line block ×5, first 2 shown]
	v_add_f64 v[8:9], v[14:15], v[12:13]
	v_add_f64 v[12:13], v[14:15], -v[12:13]
	v_fma_f64 v[46:47], v[28:29], s[12:13], v[46:47]
	v_fma_f64 v[79:80], v[28:29], s[12:13], v[20:21]
	;; [unrolled: 1-line block ×16, first 2 shown]
	v_cmp_gt_u32_e64 s0, 45, v48
	v_add_f64 v[14:15], v[46:47], v[30:31]
	v_add_f64 v[16:17], v[81:82], v[42:43]
	;; [unrolled: 1-line block ×8, first 2 shown]
	v_add_f64 v[30:31], v[46:47], -v[30:31]
	v_add_f64 v[32:33], v[81:82], -v[42:43]
	;; [unrolled: 1-line block ×8, first 2 shown]
	ds_store_b128 v4, v[6:9]
	ds_store_b128 v4, v[14:17] offset:80
	ds_store_b128 v4, v[18:21] offset:160
	;; [unrolled: 1-line block ×9, first 2 shown]
	s_waitcnt lgkmcnt(0)
	s_barrier
	buffer_gl0_inv
	ds_load_b128 v[8:11], v60
	ds_load_b128 v[44:47], v60 offset:7200
	ds_load_b128 v[40:43], v60 offset:14400
	;; [unrolled: 1-line block ×3, first 2 shown]
	ds_load_b128 v[12:15], v59
	ds_load_b128 v[4:7], v62
	ds_load_b128 v[36:39], v60 offset:9360
	ds_load_b128 v[20:23], v60 offset:11520
	;; [unrolled: 1-line block ×3, first 2 shown]
                                        ; implicit-def: $vgpr30_vgpr31
                                        ; implicit-def: $vgpr26_vgpr27
	s_and_saveexec_b32 s1, s0
	s_cbranch_execz .LBB0_15
; %bb.14:
	ds_load_b128 v[0:3], v61
	ds_load_b128 v[24:27], v60 offset:13680
	ds_load_b128 v[28:31], v60 offset:20880
.LBB0_15:
	s_or_b32 exec_lo, exec_lo, s1
	v_mul_lo_u16 v56, v56, 41
	v_lshrrev_b16 v64, 1, v50
	v_lshrrev_b16 v79, 1, v55
	s_mov_b32 s2, 0xe8584caa
	s_mov_b32 s3, 0xbfebb67a
	v_lshrrev_b16 v103, 11, v56
	v_and_b32_e32 v64, 0xffff, v64
	s_mov_b32 s7, 0x3febb67a
	s_mov_b32 s6, s2
	s_delay_alu instid0(VALU_DEP_2) | instskip(NEXT) | instid1(VALU_DEP_2)
	v_mul_lo_u16 v56, v103, 50
	v_mul_u32_u24_e32 v64, 0x147b, v64
	s_delay_alu instid0(VALU_DEP_2) | instskip(NEXT) | instid1(VALU_DEP_2)
	v_sub_nc_u16 v56, v48, v56
	v_lshrrev_b32_e32 v105, 17, v64
	s_delay_alu instid0(VALU_DEP_2) | instskip(NEXT) | instid1(VALU_DEP_2)
	v_and_b32_e32 v104, 0xff, v56
	v_mul_lo_u16 v64, v105, 50
	s_delay_alu instid0(VALU_DEP_2) | instskip(NEXT) | instid1(VALU_DEP_2)
	v_lshlrev_b32_e32 v63, 5, v104
	v_sub_nc_u16 v64, v50, v64
	global_load_b128 v[56:59], v63, s[4:5] offset:720
	v_and_b32_e32 v106, 0xffff, v64
	s_delay_alu instid0(VALU_DEP_1)
	v_lshlrev_b32_e32 v71, 5, v106
	s_clause 0x2
	global_load_b128 v[67:70], v71, s[4:5] offset:720
	global_load_b128 v[63:66], v63, s[4:5] offset:736
	;; [unrolled: 1-line block ×3, first 2 shown]
	s_waitcnt vmcnt(3) lgkmcnt(7)
	v_mul_f64 v[75:76], v[46:47], v[58:59]
	v_mul_f64 v[77:78], v[44:45], v[58:59]
	v_and_b32_e32 v58, 0xffff, v79
	s_delay_alu instid0(VALU_DEP_1) | instskip(NEXT) | instid1(VALU_DEP_1)
	v_mul_u32_u24_e32 v59, 0x147b, v58
	v_lshrrev_b32_e32 v107, 17, v59
	s_waitcnt vmcnt(1) lgkmcnt(6)
	v_mul_f64 v[79:80], v[42:43], v[65:66]
	v_mul_f64 v[65:66], v[40:41], v[65:66]
	s_delay_alu instid0(VALU_DEP_3) | instskip(NEXT) | instid1(VALU_DEP_1)
	v_mul_lo_u16 v59, v107, 50
	v_sub_nc_u16 v59, v55, v59
	s_delay_alu instid0(VALU_DEP_1) | instskip(SKIP_1) | instid1(VALU_DEP_2)
	v_and_b32_e32 v108, 0xffff, v59
	v_lshrrev_b16 v59, 1, v54
	v_lshlrev_b32_e32 v85, 5, v108
	s_delay_alu instid0(VALU_DEP_2)
	v_and_b32_e32 v59, 0xffff, v59
	v_fma_f64 v[81:82], v[44:45], v[56:57], v[75:76]
	v_fma_f64 v[45:46], v[46:47], v[56:57], -v[77:78]
	global_load_b128 v[75:78], v85, s[4:5] offset:720
	s_waitcnt lgkmcnt(2)
	v_mul_f64 v[56:57], v[38:39], v[69:70]
	v_mul_f64 v[69:70], v[36:37], v[69:70]
	v_mul_u32_u24_e32 v44, 0x147b, v59
	s_delay_alu instid0(VALU_DEP_1) | instskip(SKIP_2) | instid1(VALU_DEP_3)
	v_lshrrev_b32_e32 v44, 17, v44
	v_fma_f64 v[79:80], v[40:41], v[63:64], v[79:80]
	v_fma_f64 v[83:84], v[42:43], v[63:64], -v[65:66]
	v_mul_lo_u16 v44, v44, 50
	s_delay_alu instid0(VALU_DEP_1) | instskip(NEXT) | instid1(VALU_DEP_1)
	v_sub_nc_u16 v44, v54, v44
	v_and_b32_e32 v44, 0xffff, v44
	s_delay_alu instid0(VALU_DEP_1)
	v_lshlrev_b32_e32 v47, 5, v44
	s_clause 0x1
	global_load_b128 v[40:43], v85, s[4:5] offset:736
	global_load_b128 v[63:66], v47, s[4:5] offset:720
	v_fma_f64 v[56:57], v[36:37], v[67:68], v[56:57]
	v_fma_f64 v[67:68], v[38:39], v[67:68], -v[69:70]
	global_load_b128 v[36:39], v47, s[4:5] offset:736
	s_waitcnt vmcnt(4)
	v_mul_f64 v[69:70], v[34:35], v[73:74]
	v_mul_f64 v[73:74], v[32:33], v[73:74]
	s_waitcnt vmcnt(0) lgkmcnt(0)
	s_barrier
	buffer_gl0_inv
	v_fma_f64 v[32:33], v[32:33], v[71:72], v[69:70]
	v_fma_f64 v[34:35], v[34:35], v[71:72], -v[73:74]
	v_mul_f64 v[69:70], v[20:21], v[77:78]
	v_mul_f64 v[85:86], v[22:23], v[77:78]
	v_add_f64 v[77:78], v[12:13], v[56:57]
	v_mul_f64 v[71:72], v[18:19], v[42:43]
	v_mul_f64 v[42:43], v[16:17], v[42:43]
	;; [unrolled: 1-line block ×4, first 2 shown]
	v_fma_f64 v[22:23], v[22:23], v[75:76], -v[69:70]
	v_fma_f64 v[20:21], v[20:21], v[75:76], v[85:86]
	v_add_f64 v[75:76], v[10:11], v[45:46]
	v_mul_f64 v[69:70], v[30:31], v[38:39]
	v_mul_f64 v[38:39], v[28:29], v[38:39]
	v_add_f64 v[85:86], v[14:15], v[67:68]
	v_fma_f64 v[71:72], v[16:17], v[40:41], v[71:72]
	v_fma_f64 v[40:41], v[18:19], v[40:41], -v[42:43]
	v_fma_f64 v[16:17], v[24:25], v[63:64], v[73:74]
	v_fma_f64 v[18:19], v[26:27], v[63:64], -v[65:66]
	v_add_f64 v[24:25], v[81:82], v[79:80]
	v_add_f64 v[26:27], v[45:46], v[83:84]
	;; [unrolled: 1-line block ×4, first 2 shown]
	v_fma_f64 v[28:29], v[28:29], v[36:37], v[69:70]
	v_fma_f64 v[30:31], v[30:31], v[36:37], -v[38:39]
	v_add_f64 v[36:37], v[56:57], v[32:33]
	v_add_f64 v[38:39], v[67:68], v[34:35]
	v_add_f64 v[67:68], v[67:68], -v[34:35]
	v_add_f64 v[56:57], v[56:57], -v[32:33]
	v_add_f64 v[42:43], v[20:21], v[71:72]
	v_add_f64 v[63:64], v[22:23], v[40:41]
	;; [unrolled: 1-line block ×3, first 2 shown]
	v_add_f64 v[20:21], v[20:21], -v[71:72]
	v_fma_f64 v[89:90], v[24:25], -0.5, v[8:9]
	v_fma_f64 v[9:10], v[26:27], -0.5, v[10:11]
	v_add_f64 v[26:27], v[6:7], v[22:23]
	v_add_f64 v[22:23], v[22:23], -v[40:41]
	v_add_f64 v[24:25], v[87:88], v[71:72]
	v_add_f64 v[65:66], v[16:17], v[28:29]
	;; [unrolled: 1-line block ×3, first 2 shown]
	v_fma_f64 v[11:12], v[36:37], -0.5, v[12:13]
	v_fma_f64 v[13:14], v[38:39], -0.5, v[14:15]
	v_add_f64 v[36:37], v[2:3], v[18:19]
	v_add_f64 v[38:39], v[45:46], -v[83:84]
	v_add_f64 v[45:46], v[81:82], -v[79:80]
	;; [unrolled: 1-line block ×4, first 2 shown]
	v_add_f64 v[16:17], v[77:78], v[32:33]
	v_add_f64 v[18:19], v[85:86], v[34:35]
	v_fma_f64 v[81:82], v[42:43], -0.5, v[4:5]
	v_fma_f64 v[93:94], v[63:64], -0.5, v[6:7]
	v_add_f64 v[5:6], v[73:74], v[79:80]
	v_add_f64 v[7:8], v[75:76], v[83:84]
	v_and_b32_e32 v4, 0xffff, v103
	v_add_f64 v[26:27], v[26:27], v[40:41]
	v_fma_f64 v[97:98], v[65:66], -0.5, v[0:1]
	v_fma_f64 v[101:102], v[69:70], -0.5, v[2:3]
	v_add_f64 v[0:1], v[91:92], v[28:29]
	v_fma_f64 v[40:41], v[67:68], s[6:7], v[11:12]
	v_add_f64 v[2:3], v[36:37], v[30:31]
	v_fma_f64 v[28:29], v[38:39], s[2:3], v[89:90]
	v_fma_f64 v[32:33], v[38:39], s[6:7], v[89:90]
	;; [unrolled: 1-line block ×7, first 2 shown]
	v_mul_u32_u24_e32 v9, 0x960, v4
	v_lshlrev_b32_e32 v10, 4, v104
	v_mul_u32_u24_e32 v11, 0x960, v105
	v_sub_nc_u32_e32 v4, 0, v51
	v_mul_u32_u24_e32 v45, 0x960, v107
	v_lshlrev_b32_e32 v46, 4, v108
	v_add3_u32 v9, 0, v9, v10
	v_lshlrev_b32_e32 v10, 4, v106
	s_delay_alu instid0(VALU_DEP_1) | instskip(NEXT) | instid1(VALU_DEP_4)
	v_add3_u32 v10, 0, v11, v10
	v_add3_u32 v11, 0, v45, v46
	v_fma_f64 v[63:64], v[22:23], s[2:3], v[81:82]
	v_fma_f64 v[67:68], v[22:23], s[6:7], v[81:82]
	;; [unrolled: 1-line block ×4, first 2 shown]
	ds_store_b128 v9, v[5:8]
	ds_store_b128 v9, v[28:31] offset:800
	ds_store_b128 v9, v[32:35] offset:1600
	ds_store_b128 v10, v[16:19]
	ds_store_b128 v10, v[36:39] offset:800
	ds_store_b128 v10, v[40:43] offset:1600
	;; [unrolled: 3-line block ×3, first 2 shown]
	v_fma_f64 v[12:13], v[95:96], s[2:3], v[97:98]
	v_fma_f64 v[20:21], v[95:96], s[6:7], v[97:98]
	;; [unrolled: 1-line block ×4, first 2 shown]
	s_and_saveexec_b32 s1, s0
	s_cbranch_execz .LBB0_17
; %bb.16:
	v_lshl_add_u32 v5, v44, 4, 0
	ds_store_b128 v5, v[0:3] offset:19200
	ds_store_b128 v5, v[12:15] offset:20000
	ds_store_b128 v5, v[20:23] offset:20800
.LBB0_17:
	s_or_b32 exec_lo, exec_lo, s1
	v_add_nc_u32_e32 v63, v49, v4
	s_waitcnt lgkmcnt(0)
	s_barrier
	buffer_gl0_inv
	ds_load_b128 v[16:19], v60
	ds_load_b128 v[44:47], v60 offset:7200
	ds_load_b128 v[36:39], v60 offset:14400
	;; [unrolled: 1-line block ×3, first 2 shown]
	ds_load_b128 v[8:11], v63
	ds_load_b128 v[4:7], v62
	ds_load_b128 v[40:43], v60 offset:9360
	ds_load_b128 v[28:31], v60 offset:11520
	;; [unrolled: 1-line block ×3, first 2 shown]
	s_and_saveexec_b32 s1, s0
	s_cbranch_execz .LBB0_19
; %bb.18:
	ds_load_b128 v[0:3], v61
	ds_load_b128 v[12:15], v60 offset:13680
	ds_load_b128 v[20:23], v60 offset:20880
.LBB0_19:
	s_or_b32 exec_lo, exec_lo, s1
	v_dual_mov_b32 v73, 0 :: v_dual_lshlrev_b32 v72, 1, v48
	v_add_nc_u32_e32 v49, -15, v48
	s_mov_b32 s6, s2
	s_delay_alu instid0(VALU_DEP_2) | instskip(NEXT) | instid1(VALU_DEP_1)
	v_lshlrev_b64 v[56:57], 4, v[72:73]
	v_add_co_u32 v56, s1, s4, v56
	s_delay_alu instid0(VALU_DEP_1)
	v_add_co_ci_u32_e64 v57, s1, s5, v57, s1
	v_cmp_gt_u32_e64 s1, 15, v48
	s_clause 0x1
	global_load_b128 v[64:67], v[56:57], off offset:2320
	global_load_b128 v[68:71], v[56:57], off offset:2336
	v_cndmask_b32_e64 v51, v49, v50, s1
	v_mul_u32_u24_e32 v49, 0xda75, v58
	s_delay_alu instid0(VALU_DEP_2) | instskip(NEXT) | instid1(VALU_DEP_2)
	v_lshlrev_b32_e32 v72, 1, v51
	v_lshrrev_b32_e32 v100, 22, v49
	v_lshlrev_b32_e32 v51, 4, v51
	s_delay_alu instid0(VALU_DEP_3) | instskip(NEXT) | instid1(VALU_DEP_3)
	v_lshlrev_b64 v[72:73], 4, v[72:73]
	v_mul_lo_u16 v49, 0x96, v100
	s_delay_alu instid0(VALU_DEP_1) | instskip(NEXT) | instid1(VALU_DEP_3)
	v_sub_nc_u16 v49, v55, v49
	v_add_co_u32 v76, s1, s4, v72
	s_delay_alu instid0(VALU_DEP_1) | instskip(NEXT) | instid1(VALU_DEP_3)
	v_add_co_ci_u32_e64 v77, s1, s5, v73, s1
	v_and_b32_e32 v101, 0xffff, v49
	v_mul_u32_u24_e32 v49, 0xda75, v59
	v_cmp_lt_u32_e64 s1, 14, v48
	s_clause 0x1
	global_load_b128 v[72:75], v[76:77], off offset:2320
	global_load_b128 v[76:79], v[76:77], off offset:2336
	v_lshlrev_b32_e32 v88, 5, v101
	v_lshrrev_b32_e32 v49, 22, v49
	global_load_b128 v[80:83], v88, s[4:5] offset:2320
	v_mul_lo_u16 v49, 0x96, v49
	s_delay_alu instid0(VALU_DEP_1) | instskip(NEXT) | instid1(VALU_DEP_1)
	v_sub_nc_u16 v49, v54, v49
	v_and_b32_e32 v49, 0xffff, v49
	s_waitcnt vmcnt(4) lgkmcnt(7)
	v_mul_f64 v[84:85], v[46:47], v[66:67]
	v_mul_f64 v[66:67], v[44:45], v[66:67]
	s_waitcnt vmcnt(3) lgkmcnt(6)
	v_mul_f64 v[86:87], v[38:39], v[70:71]
	v_mul_f64 v[70:71], v[36:37], v[70:71]
	s_delay_alu instid0(VALU_DEP_4) | instskip(NEXT) | instid1(VALU_DEP_4)
	v_fma_f64 v[58:59], v[44:45], v[64:65], v[84:85]
	v_fma_f64 v[84:85], v[46:47], v[64:65], -v[66:67]
	global_load_b128 v[44:47], v88, s[4:5] offset:2336
	v_lshlrev_b32_e32 v64, 5, v49
	v_fma_f64 v[86:87], v[36:37], v[68:69], v[86:87]
	v_fma_f64 v[68:69], v[38:39], v[68:69], -v[70:71]
	s_clause 0x1
	global_load_b128 v[36:39], v64, s[4:5] offset:2320
	global_load_b128 v[64:67], v64, s[4:5] offset:2336
	s_waitcnt vmcnt(5) lgkmcnt(2)
	v_mul_f64 v[70:71], v[42:43], v[74:75]
	v_mul_f64 v[74:75], v[40:41], v[74:75]
	s_waitcnt vmcnt(0) lgkmcnt(0)
	s_barrier
	buffer_gl0_inv
	v_fma_f64 v[40:41], v[40:41], v[72:73], v[70:71]
	v_fma_f64 v[42:43], v[42:43], v[72:73], -v[74:75]
	v_mul_f64 v[70:71], v[34:35], v[78:79]
	v_mul_f64 v[72:73], v[32:33], v[78:79]
	;; [unrolled: 1-line block ×4, first 2 shown]
	s_delay_alu instid0(VALU_DEP_4) | instskip(NEXT) | instid1(VALU_DEP_4)
	v_fma_f64 v[32:33], v[32:33], v[76:77], v[70:71]
	v_fma_f64 v[34:35], v[34:35], v[76:77], -v[72:73]
	s_delay_alu instid0(VALU_DEP_4) | instskip(NEXT) | instid1(VALU_DEP_4)
	v_fma_f64 v[28:29], v[28:29], v[80:81], v[74:75]
	v_fma_f64 v[30:31], v[30:31], v[80:81], -v[78:79]
	v_add_f64 v[74:75], v[16:17], v[58:59]
	v_add_f64 v[78:79], v[8:9], v[40:41]
	;; [unrolled: 1-line block ×5, first 2 shown]
	v_mul_f64 v[70:71], v[26:27], v[46:47]
	v_mul_f64 v[46:47], v[24:25], v[46:47]
	;; [unrolled: 1-line block ×6, first 2 shown]
	v_fma_f64 v[24:25], v[24:25], v[44:45], v[70:71]
	v_fma_f64 v[26:27], v[26:27], v[44:45], -v[46:47]
	v_add_f64 v[46:47], v[42:43], v[34:35]
	v_add_f64 v[42:43], v[42:43], -v[34:35]
	v_fma_f64 v[12:13], v[12:13], v[36:37], v[72:73]
	v_fma_f64 v[44:45], v[20:21], v[64:65], v[76:77]
	v_fma_f64 v[14:15], v[14:15], v[36:37], -v[38:39]
	v_fma_f64 v[36:37], v[22:23], v[64:65], -v[66:67]
	v_add_f64 v[38:39], v[40:41], v[32:33]
	v_add_f64 v[20:21], v[58:59], v[86:87]
	;; [unrolled: 1-line block ×4, first 2 shown]
	v_add_f64 v[84:85], v[84:85], -v[68:69]
	v_add_f64 v[58:59], v[58:59], -v[86:87]
	v_add_f64 v[64:65], v[28:29], v[24:25]
	v_add_f64 v[66:67], v[30:31], v[26:27]
	v_fma_f64 v[10:11], v[46:47], -0.5, v[10:11]
	v_add_f64 v[46:47], v[30:31], -v[26:27]
	v_add_f64 v[94:95], v[0:1], v[12:13]
	v_add_f64 v[70:71], v[12:13], v[44:45]
	;; [unrolled: 1-line block ×4, first 2 shown]
	v_fma_f64 v[8:9], v[38:39], -0.5, v[8:9]
	v_add_f64 v[38:39], v[40:41], -v[32:33]
	v_add_f64 v[98:99], v[12:13], -v[44:45]
	v_fma_f64 v[90:91], v[20:21], -0.5, v[16:17]
	v_fma_f64 v[92:93], v[22:23], -0.5, v[18:19]
	v_add_f64 v[12:13], v[74:75], v[86:87]
	v_add_f64 v[16:17], v[78:79], v[32:33]
	;; [unrolled: 1-line block ×5, first 2 shown]
	v_fma_f64 v[4:5], v[64:65], -0.5, v[4:5]
	v_add_f64 v[64:65], v[28:29], -v[24:25]
	v_fma_f64 v[6:7], v[66:67], -0.5, v[6:7]
	v_add_f64 v[66:67], v[14:15], -v[36:37]
	v_add_f64 v[14:15], v[76:77], v[68:69]
	v_fma_f64 v[70:71], v[70:71], -0.5, v[0:1]
	v_add_f64 v[0:1], v[94:95], v[44:45]
	v_fma_f64 v[72:73], v[72:73], -0.5, v[2:3]
	v_add_f64 v[2:3], v[96:97], v[36:37]
	v_fma_f64 v[32:33], v[42:43], s[2:3], v[8:9]
	v_fma_f64 v[36:37], v[42:43], s[6:7], v[8:9]
	;; [unrolled: 1-line block ×8, first 2 shown]
	v_cndmask_b32_e64 v58, 0, 0x1c20, s1
	v_mul_u32_u24_e32 v59, 0x1c20, v100
	s_delay_alu instid0(VALU_DEP_2)
	v_add3_u32 v51, 0, v58, v51
	v_fma_f64 v[40:41], v[46:47], s[2:3], v[4:5]
	v_fma_f64 v[44:45], v[46:47], s[6:7], v[4:5]
	;; [unrolled: 1-line block ×4, first 2 shown]
	v_lshlrev_b32_e32 v64, 4, v101
	v_fma_f64 v[4:5], v[66:67], s[2:3], v[70:71]
	v_fma_f64 v[8:9], v[66:67], s[6:7], v[70:71]
	;; [unrolled: 1-line block ×4, first 2 shown]
	v_add3_u32 v58, 0, v59, v64
	ds_store_b128 v60, v[12:15]
	ds_store_b128 v60, v[24:27] offset:2400
	ds_store_b128 v60, v[28:31] offset:4800
	ds_store_b128 v51, v[16:19]
	ds_store_b128 v51, v[32:35] offset:2400
	ds_store_b128 v51, v[36:39] offset:4800
	;; [unrolled: 3-line block ×3, first 2 shown]
	s_and_saveexec_b32 s1, s0
	s_cbranch_execz .LBB0_21
; %bb.20:
	v_lshl_add_u32 v12, v49, 4, 0
	ds_store_b128 v12, v[0:3] offset:14400
	ds_store_b128 v12, v[4:7] offset:16800
	;; [unrolled: 1-line block ×3, first 2 shown]
.LBB0_21:
	s_or_b32 exec_lo, exec_lo, s1
	s_waitcnt lgkmcnt(0)
	s_barrier
	buffer_gl0_inv
	ds_load_b128 v[16:19], v60
	ds_load_b128 v[40:43], v60 offset:7200
	ds_load_b128 v[28:31], v60 offset:14400
	;; [unrolled: 1-line block ×3, first 2 shown]
	ds_load_b128 v[20:23], v63
	ds_load_b128 v[12:15], v62
	ds_load_b128 v[44:47], v60 offset:9360
	ds_load_b128 v[32:35], v60 offset:11520
	;; [unrolled: 1-line block ×3, first 2 shown]
	s_and_saveexec_b32 s1, s0
	s_cbranch_execz .LBB0_23
; %bb.22:
	ds_load_b128 v[0:3], v61
	ds_load_b128 v[4:7], v60 offset:13680
	ds_load_b128 v[8:11], v60 offset:20880
.LBB0_23:
	s_or_b32 exec_lo, exec_lo, s1
	v_add_co_u32 v64, s1, 0x1000, v56
	s_delay_alu instid0(VALU_DEP_1)
	v_add_co_ci_u32_e64 v65, s1, 0, v57, s1
	v_dual_mov_b32 v59, 0 :: v_dual_lshlrev_b32 v58, 1, v50
	v_add_co_u32 v56, s1, 0x1bd0, v56
	global_load_b128 v[64:67], v[64:65], off offset:3024
	v_add_co_ci_u32_e64 v57, s1, 0, v57, s1
	v_lshlrev_b64 v[72:73], 4, v[58:59]
	v_lshlrev_b32_e32 v58, 1, v55
	s_mov_b32 s6, s2
	global_load_b128 v[68:71], v[56:57], off offset:16
	v_add_co_u32 v49, s1, s4, v72
	s_delay_alu instid0(VALU_DEP_1) | instskip(SKIP_1) | instid1(VALU_DEP_3)
	v_add_co_ci_u32_e64 v51, s1, s5, v73, s1
	v_lshlrev_b64 v[56:57], 4, v[58:59]
	v_add_co_u32 v76, s1, 0x1bd0, v49
	s_delay_alu instid0(VALU_DEP_1) | instskip(NEXT) | instid1(VALU_DEP_3)
	v_add_co_ci_u32_e64 v77, s1, 0, v51, s1
	v_add_co_u32 v58, s1, s4, v56
	s_delay_alu instid0(VALU_DEP_1) | instskip(SKIP_1) | instid1(VALU_DEP_1)
	v_add_co_ci_u32_e64 v72, s1, s5, v57, s1
	v_add_co_u32 v56, s1, 0x1000, v49
	v_add_co_ci_u32_e64 v57, s1, 0, v51, s1
	s_delay_alu instid0(VALU_DEP_4) | instskip(NEXT) | instid1(VALU_DEP_1)
	v_add_co_u32 v80, s1, 0x1000, v58
	v_add_co_ci_u32_e64 v81, s1, 0, v72, s1
	v_add_co_u32 v84, s1, 0x1bd0, v58
	s_delay_alu instid0(VALU_DEP_1)
	v_add_co_ci_u32_e64 v85, s1, 0, v72, s1
	s_clause 0x3
	global_load_b128 v[72:75], v[56:57], off offset:3024
	global_load_b128 v[76:79], v[76:77], off offset:16
	;; [unrolled: 1-line block ×4, first 2 shown]
	s_waitcnt vmcnt(0) lgkmcnt(0)
	s_barrier
	buffer_gl0_inv
	v_mul_f64 v[56:57], v[42:43], v[66:67]
	v_mul_f64 v[66:67], v[40:41], v[66:67]
	;; [unrolled: 1-line block ×11, first 2 shown]
	v_fma_f64 v[40:41], v[40:41], v[64:65], v[56:57]
	v_mul_f64 v[56:57], v[36:37], v[86:87]
	v_fma_f64 v[42:43], v[42:43], v[64:65], -v[66:67]
	v_fma_f64 v[28:29], v[28:29], v[68:69], v[88:89]
	v_fma_f64 v[30:31], v[30:31], v[68:69], -v[70:71]
	v_fma_f64 v[44:45], v[44:45], v[72:73], v[90:91]
	v_fma_f64 v[46:47], v[46:47], v[72:73], -v[74:75]
	v_fma_f64 v[24:25], v[24:25], v[76:77], v[92:93]
	v_fma_f64 v[26:27], v[26:27], v[76:77], -v[78:79]
	v_fma_f64 v[32:33], v[32:33], v[80:81], v[94:95]
	v_fma_f64 v[36:37], v[36:37], v[84:85], v[96:97]
	v_fma_f64 v[34:35], v[34:35], v[80:81], -v[82:83]
	v_add_f64 v[74:75], v[16:17], v[40:41]
	v_fma_f64 v[38:39], v[38:39], v[84:85], -v[56:57]
	v_add_f64 v[56:57], v[40:41], v[28:29]
	v_add_f64 v[64:65], v[42:43], v[30:31]
	v_add_f64 v[76:77], v[42:43], -v[30:31]
	v_add_f64 v[42:43], v[18:19], v[42:43]
	v_add_f64 v[40:41], v[40:41], -v[28:29]
	v_add_f64 v[78:79], v[20:21], v[44:45]
	v_add_f64 v[80:81], v[22:23], v[46:47]
	;; [unrolled: 1-line block ×4, first 2 shown]
	v_add_f64 v[46:47], v[46:47], -v[26:27]
	v_add_f64 v[70:71], v[32:33], v[36:37]
	v_add_f64 v[44:45], v[44:45], -v[24:25]
	v_add_f64 v[82:83], v[12:13], v[32:33]
	v_add_f64 v[72:73], v[34:35], v[38:39]
	;; [unrolled: 1-line block ×3, first 2 shown]
	v_add_f64 v[86:87], v[34:35], -v[38:39]
	v_add_f64 v[88:89], v[32:33], -v[36:37]
	v_fma_f64 v[56:57], v[56:57], -0.5, v[16:17]
	v_fma_f64 v[64:65], v[64:65], -0.5, v[18:19]
	v_add_f64 v[16:17], v[78:79], v[24:25]
	v_add_f64 v[18:19], v[80:81], v[26:27]
	v_fma_f64 v[66:67], v[66:67], -0.5, v[20:21]
	v_fma_f64 v[68:69], v[68:69], -0.5, v[22:23]
	;; [unrolled: 1-line block ×3, first 2 shown]
	v_add_f64 v[12:13], v[74:75], v[28:29]
	v_add_f64 v[20:21], v[82:83], v[36:37]
	v_fma_f64 v[72:73], v[72:73], -0.5, v[14:15]
	v_add_f64 v[14:15], v[42:43], v[30:31]
	v_add_f64 v[22:23], v[84:85], v[38:39]
	v_fma_f64 v[24:25], v[76:77], s[2:3], v[56:57]
	v_fma_f64 v[26:27], v[40:41], s[6:7], v[64:65]
	;; [unrolled: 1-line block ×12, first 2 shown]
	ds_store_b128 v60, v[12:15]
	ds_store_b128 v60, v[24:27] offset:7200
	ds_store_b128 v60, v[28:31] offset:14400
	ds_store_b128 v63, v[16:19]
	ds_store_b128 v63, v[32:35] offset:7200
	ds_store_b128 v63, v[36:39] offset:14400
	;; [unrolled: 3-line block ×3, first 2 shown]
	s_and_saveexec_b32 s1, s0
	s_cbranch_execz .LBB0_25
; %bb.24:
	v_subrev_nc_u32_e32 v12, 45, v48
	s_delay_alu instid0(VALU_DEP_1) | instskip(NEXT) | instid1(VALU_DEP_1)
	v_cndmask_b32_e64 v12, v12, v54, s0
	v_lshlrev_b32_e32 v58, 1, v12
	s_delay_alu instid0(VALU_DEP_1) | instskip(NEXT) | instid1(VALU_DEP_1)
	v_lshlrev_b64 v[12:13], 4, v[58:59]
	v_add_co_u32 v14, s0, s4, v12
	s_delay_alu instid0(VALU_DEP_1) | instskip(NEXT) | instid1(VALU_DEP_2)
	v_add_co_ci_u32_e64 v15, s0, s5, v13, s0
	v_add_co_u32 v12, s0, 0x1000, v14
	s_delay_alu instid0(VALU_DEP_1) | instskip(SKIP_1) | instid1(VALU_DEP_1)
	v_add_co_ci_u32_e64 v13, s0, 0, v15, s0
	v_add_co_u32 v16, s0, 0x1bd0, v14
	v_add_co_ci_u32_e64 v17, s0, 0, v15, s0
	s_clause 0x1
	global_load_b128 v[12:15], v[12:13], off offset:3024
	global_load_b128 v[16:19], v[16:17], off offset:16
	s_waitcnt vmcnt(1)
	v_mul_f64 v[20:21], v[4:5], v[14:15]
	s_waitcnt vmcnt(0)
	v_mul_f64 v[22:23], v[8:9], v[18:19]
	v_mul_f64 v[14:15], v[6:7], v[14:15]
	;; [unrolled: 1-line block ×3, first 2 shown]
	s_delay_alu instid0(VALU_DEP_4) | instskip(NEXT) | instid1(VALU_DEP_4)
	v_fma_f64 v[6:7], v[6:7], v[12:13], -v[20:21]
	v_fma_f64 v[10:11], v[10:11], v[16:17], -v[22:23]
	s_delay_alu instid0(VALU_DEP_4) | instskip(NEXT) | instid1(VALU_DEP_4)
	v_fma_f64 v[4:5], v[4:5], v[12:13], v[14:15]
	v_fma_f64 v[8:9], v[8:9], v[16:17], v[18:19]
	s_delay_alu instid0(VALU_DEP_4) | instskip(NEXT) | instid1(VALU_DEP_4)
	v_add_f64 v[18:19], v[2:3], v[6:7]
	v_add_f64 v[12:13], v[6:7], v[10:11]
	v_add_f64 v[20:21], v[6:7], -v[10:11]
	s_delay_alu instid0(VALU_DEP_4)
	v_add_f64 v[14:15], v[4:5], v[8:9]
	v_add_f64 v[16:17], v[4:5], -v[8:9]
	v_add_f64 v[4:5], v[0:1], v[4:5]
	v_fma_f64 v[12:13], v[12:13], -0.5, v[2:3]
	v_add_f64 v[2:3], v[18:19], v[10:11]
	v_fma_f64 v[14:15], v[14:15], -0.5, v[0:1]
	s_delay_alu instid0(VALU_DEP_4) | instskip(NEXT) | instid1(VALU_DEP_4)
	v_add_f64 v[0:1], v[4:5], v[8:9]
	v_fma_f64 v[10:11], v[16:17], s[6:7], v[12:13]
	v_fma_f64 v[6:7], v[16:17], s[2:3], v[12:13]
	s_delay_alu instid0(VALU_DEP_4)
	v_fma_f64 v[8:9], v[20:21], s[2:3], v[14:15]
	v_fma_f64 v[4:5], v[20:21], s[6:7], v[14:15]
	ds_store_b128 v60, v[0:3] offset:6480
	ds_store_b128 v60, v[8:11] offset:13680
	;; [unrolled: 1-line block ×3, first 2 shown]
.LBB0_25:
	s_or_b32 exec_lo, exec_lo, s1
	s_waitcnt lgkmcnt(0)
	s_barrier
	buffer_gl0_inv
	ds_load_b128 v[4:7], v60
	v_lshlrev_b32_e32 v0, 4, v48
	s_add_u32 s1, s4, 0x5410
	s_addc_u32 s2, s5, 0
	s_mov_b32 s3, exec_lo
                                        ; implicit-def: $vgpr8_vgpr9
                                        ; implicit-def: $vgpr10_vgpr11
	s_delay_alu instid0(VALU_DEP_1)
	v_sub_nc_u32_e32 v12, 0, v0
                                        ; implicit-def: $vgpr0_vgpr1
	v_cmpx_ne_u32_e32 0, v48
	s_xor_b32 s3, exec_lo, s3
	s_cbranch_execz .LBB0_27
; %bb.26:
	v_mov_b32_e32 v49, 0
	s_delay_alu instid0(VALU_DEP_1) | instskip(NEXT) | instid1(VALU_DEP_1)
	v_lshlrev_b64 v[0:1], 4, v[48:49]
	v_add_co_u32 v0, s0, s1, v0
	s_delay_alu instid0(VALU_DEP_1)
	v_add_co_ci_u32_e64 v1, s0, s2, v1, s0
	global_load_b128 v[13:16], v[0:1], off
	ds_load_b128 v[0:3], v12 offset:21600
	s_waitcnt lgkmcnt(0)
	v_add_f64 v[8:9], v[4:5], -v[0:1]
	v_add_f64 v[10:11], v[6:7], v[2:3]
	v_add_f64 v[2:3], v[6:7], -v[2:3]
	v_add_f64 v[0:1], v[4:5], v[0:1]
	s_delay_alu instid0(VALU_DEP_4) | instskip(NEXT) | instid1(VALU_DEP_4)
	v_mul_f64 v[6:7], v[8:9], 0.5
	v_mul_f64 v[4:5], v[10:11], 0.5
	s_delay_alu instid0(VALU_DEP_4) | instskip(SKIP_1) | instid1(VALU_DEP_3)
	v_mul_f64 v[2:3], v[2:3], 0.5
	s_waitcnt vmcnt(0)
	v_mul_f64 v[8:9], v[6:7], v[15:16]
	s_delay_alu instid0(VALU_DEP_2) | instskip(SKIP_1) | instid1(VALU_DEP_3)
	v_fma_f64 v[10:11], v[4:5], v[15:16], v[2:3]
	v_fma_f64 v[2:3], v[4:5], v[15:16], -v[2:3]
	v_fma_f64 v[17:18], v[0:1], 0.5, v[8:9]
	v_fma_f64 v[0:1], v[0:1], 0.5, -v[8:9]
	s_delay_alu instid0(VALU_DEP_4) | instskip(NEXT) | instid1(VALU_DEP_4)
	v_fma_f64 v[10:11], -v[13:14], v[6:7], v[10:11]
	v_fma_f64 v[2:3], -v[13:14], v[6:7], v[2:3]
	s_delay_alu instid0(VALU_DEP_4) | instskip(NEXT) | instid1(VALU_DEP_4)
	v_fma_f64 v[8:9], v[4:5], v[13:14], v[17:18]
	v_fma_f64 v[0:1], -v[4:5], v[13:14], v[0:1]
                                        ; implicit-def: $vgpr4_vgpr5
.LBB0_27:
	s_and_not1_saveexec_b32 s0, s3
	s_cbranch_execz .LBB0_29
; %bb.28:
	s_waitcnt lgkmcnt(0)
	v_add_f64 v[8:9], v[4:5], v[6:7]
	v_add_f64 v[0:1], v[4:5], -v[6:7]
	v_mov_b32_e32 v6, 0
	v_mov_b32_e32 v10, 0
	;; [unrolled: 1-line block ×3, first 2 shown]
	s_delay_alu instid0(VALU_DEP_2)
	v_mov_b32_e32 v2, v10
	ds_load_b64 v[4:5], v6 offset:10808
	v_mov_b32_e32 v3, v11
	s_waitcnt lgkmcnt(0)
	v_xor_b32_e32 v5, 0x80000000, v5
	ds_store_b64 v6, v[4:5] offset:10808
.LBB0_29:
	s_or_b32 exec_lo, exec_lo, s0
	v_mov_b32_e32 v51, 0
	s_waitcnt lgkmcnt(0)
	s_delay_alu instid0(VALU_DEP_1) | instskip(SKIP_2) | instid1(VALU_DEP_3)
	v_lshlrev_b64 v[4:5], 4, v[50:51]
	v_add_nc_u32_e32 v50, 0x21c, v48
	v_mov_b32_e32 v56, v51
	v_add_co_u32 v4, s0, s1, v4
	s_delay_alu instid0(VALU_DEP_1) | instskip(NEXT) | instid1(VALU_DEP_3)
	v_add_co_ci_u32_e64 v5, s0, s2, v5, s0
	v_lshlrev_b64 v[13:14], 4, v[55:56]
	v_mov_b32_e32 v55, v51
	global_load_b128 v[4:7], v[4:5], off
	v_add_co_u32 v13, s0, s1, v13
	s_delay_alu instid0(VALU_DEP_1)
	v_add_co_ci_u32_e64 v14, s0, s2, v14, s0
	global_load_b128 v[13:16], v[13:14], off
	ds_store_2addr_b64 v60, v[8:9], v[10:11] offset1:1
	ds_store_b128 v12, v[0:3] offset:21600
	ds_load_b128 v[0:3], v63
	ds_load_b128 v[8:11], v12 offset:19440
	s_waitcnt lgkmcnt(0)
	v_add_f64 v[17:18], v[0:1], -v[8:9]
	v_add_f64 v[19:20], v[2:3], v[10:11]
	v_add_f64 v[2:3], v[2:3], -v[10:11]
	v_add_f64 v[0:1], v[0:1], v[8:9]
	s_delay_alu instid0(VALU_DEP_4) | instskip(NEXT) | instid1(VALU_DEP_4)
	v_mul_f64 v[10:11], v[17:18], 0.5
	v_mul_f64 v[17:18], v[19:20], 0.5
	s_delay_alu instid0(VALU_DEP_4) | instskip(SKIP_1) | instid1(VALU_DEP_3)
	v_mul_f64 v[2:3], v[2:3], 0.5
	s_waitcnt vmcnt(1)
	v_mul_f64 v[8:9], v[10:11], v[6:7]
	s_delay_alu instid0(VALU_DEP_2) | instskip(SKIP_1) | instid1(VALU_DEP_3)
	v_fma_f64 v[19:20], v[17:18], v[6:7], v[2:3]
	v_fma_f64 v[2:3], v[17:18], v[6:7], -v[2:3]
	v_fma_f64 v[6:7], v[0:1], 0.5, v[8:9]
	v_fma_f64 v[0:1], v[0:1], 0.5, -v[8:9]
	s_delay_alu instid0(VALU_DEP_4) | instskip(NEXT) | instid1(VALU_DEP_4)
	v_fma_f64 v[8:9], -v[4:5], v[10:11], v[19:20]
	v_fma_f64 v[10:11], -v[4:5], v[10:11], v[2:3]
	s_delay_alu instid0(VALU_DEP_4) | instskip(NEXT) | instid1(VALU_DEP_4)
	v_fma_f64 v[6:7], v[17:18], v[4:5], v[6:7]
	v_fma_f64 v[4:5], -v[17:18], v[4:5], v[0:1]
	v_lshlrev_b64 v[0:1], 4, v[54:55]
	s_delay_alu instid0(VALU_DEP_1) | instskip(NEXT) | instid1(VALU_DEP_1)
	v_add_co_u32 v0, s0, s1, v0
	v_add_co_ci_u32_e64 v1, s0, s2, v1, s0
	global_load_b128 v[0:3], v[0:1], off
	ds_store_b64 v63, v[8:9] offset:8
	ds_store_b64 v12, v[10:11] offset:19448
	ds_store_b64 v63, v[6:7]
	ds_store_b64 v12, v[4:5] offset:19440
	ds_load_b128 v[4:7], v62
	ds_load_b128 v[8:11], v12 offset:17280
	s_waitcnt lgkmcnt(0)
	v_add_f64 v[17:18], v[4:5], -v[8:9]
	v_add_f64 v[19:20], v[6:7], v[10:11]
	v_add_f64 v[6:7], v[6:7], -v[10:11]
	v_add_f64 v[4:5], v[4:5], v[8:9]
	s_delay_alu instid0(VALU_DEP_4) | instskip(NEXT) | instid1(VALU_DEP_4)
	v_mul_f64 v[10:11], v[17:18], 0.5
	v_mul_f64 v[17:18], v[19:20], 0.5
	s_delay_alu instid0(VALU_DEP_4) | instskip(SKIP_1) | instid1(VALU_DEP_3)
	v_mul_f64 v[6:7], v[6:7], 0.5
	s_waitcnt vmcnt(1)
	v_mul_f64 v[8:9], v[10:11], v[15:16]
	s_delay_alu instid0(VALU_DEP_2) | instskip(SKIP_1) | instid1(VALU_DEP_3)
	v_fma_f64 v[19:20], v[17:18], v[15:16], v[6:7]
	v_fma_f64 v[6:7], v[17:18], v[15:16], -v[6:7]
	v_fma_f64 v[15:16], v[4:5], 0.5, v[8:9]
	v_fma_f64 v[4:5], v[4:5], 0.5, -v[8:9]
	s_delay_alu instid0(VALU_DEP_4) | instskip(NEXT) | instid1(VALU_DEP_4)
	v_fma_f64 v[19:20], -v[13:14], v[10:11], v[19:20]
	v_fma_f64 v[6:7], -v[13:14], v[10:11], v[6:7]
	v_lshlrev_b64 v[8:9], 4, v[50:51]
	s_delay_alu instid0(VALU_DEP_1) | instskip(NEXT) | instid1(VALU_DEP_1)
	v_add_co_u32 v8, s0, s1, v8
	v_add_co_ci_u32_e64 v9, s0, s2, v9, s0
	global_load_b128 v[8:11], v[8:9], off
	v_fma_f64 v[15:16], v[17:18], v[13:14], v[15:16]
	v_fma_f64 v[4:5], -v[17:18], v[13:14], v[4:5]
	ds_store_2addr_b64 v62, v[15:16], v[19:20] offset1:1
	ds_store_b128 v12, v[4:7] offset:17280
	ds_load_b128 v[4:7], v61
	ds_load_b128 v[13:16], v12 offset:15120
	s_waitcnt lgkmcnt(0)
	v_add_f64 v[17:18], v[4:5], -v[13:14]
	v_add_f64 v[19:20], v[6:7], v[15:16]
	v_add_f64 v[6:7], v[6:7], -v[15:16]
	v_add_f64 v[4:5], v[4:5], v[13:14]
	s_delay_alu instid0(VALU_DEP_4) | instskip(NEXT) | instid1(VALU_DEP_4)
	v_mul_f64 v[15:16], v[17:18], 0.5
	v_mul_f64 v[17:18], v[19:20], 0.5
	s_delay_alu instid0(VALU_DEP_4) | instskip(SKIP_1) | instid1(VALU_DEP_3)
	v_mul_f64 v[6:7], v[6:7], 0.5
	s_waitcnt vmcnt(1)
	v_mul_f64 v[13:14], v[15:16], v[2:3]
	s_delay_alu instid0(VALU_DEP_2) | instskip(SKIP_1) | instid1(VALU_DEP_3)
	v_fma_f64 v[19:20], v[17:18], v[2:3], v[6:7]
	v_fma_f64 v[2:3], v[17:18], v[2:3], -v[6:7]
	v_fma_f64 v[6:7], v[4:5], 0.5, v[13:14]
	v_fma_f64 v[4:5], v[4:5], 0.5, -v[13:14]
	s_delay_alu instid0(VALU_DEP_4) | instskip(NEXT) | instid1(VALU_DEP_4)
	v_fma_f64 v[13:14], -v[0:1], v[15:16], v[19:20]
	v_fma_f64 v[2:3], -v[0:1], v[15:16], v[2:3]
	s_delay_alu instid0(VALU_DEP_4) | instskip(NEXT) | instid1(VALU_DEP_4)
	v_fma_f64 v[6:7], v[17:18], v[0:1], v[6:7]
	v_fma_f64 v[0:1], -v[17:18], v[0:1], v[4:5]
	ds_store_2addr_b64 v61, v[6:7], v[13:14] offset1:1
	ds_store_b128 v12, v[0:3] offset:15120
	ds_load_b128 v[0:3], v60 offset:8640
	ds_load_b128 v[4:7], v12 offset:12960
	s_waitcnt lgkmcnt(0)
	v_add_f64 v[13:14], v[0:1], -v[4:5]
	v_add_f64 v[15:16], v[2:3], v[6:7]
	v_add_f64 v[2:3], v[2:3], -v[6:7]
	v_add_f64 v[0:1], v[0:1], v[4:5]
	s_delay_alu instid0(VALU_DEP_4) | instskip(NEXT) | instid1(VALU_DEP_4)
	v_mul_f64 v[6:7], v[13:14], 0.5
	v_mul_f64 v[13:14], v[15:16], 0.5
	s_delay_alu instid0(VALU_DEP_4) | instskip(SKIP_1) | instid1(VALU_DEP_3)
	v_mul_f64 v[2:3], v[2:3], 0.5
	s_waitcnt vmcnt(0)
	v_mul_f64 v[4:5], v[6:7], v[10:11]
	s_delay_alu instid0(VALU_DEP_2) | instskip(SKIP_1) | instid1(VALU_DEP_3)
	v_fma_f64 v[15:16], v[13:14], v[10:11], v[2:3]
	v_fma_f64 v[2:3], v[13:14], v[10:11], -v[2:3]
	v_fma_f64 v[10:11], v[0:1], 0.5, v[4:5]
	v_fma_f64 v[0:1], v[0:1], 0.5, -v[4:5]
	s_delay_alu instid0(VALU_DEP_4) | instskip(NEXT) | instid1(VALU_DEP_4)
	v_fma_f64 v[4:5], -v[8:9], v[6:7], v[15:16]
	v_fma_f64 v[2:3], -v[8:9], v[6:7], v[2:3]
	s_delay_alu instid0(VALU_DEP_4) | instskip(NEXT) | instid1(VALU_DEP_4)
	v_fma_f64 v[6:7], v[13:14], v[8:9], v[10:11]
	v_fma_f64 v[0:1], -v[13:14], v[8:9], v[0:1]
	v_add_nc_u32_e32 v8, 0x2000, v60
	ds_store_2addr_b64 v8, v[6:7], v[4:5] offset0:56 offset1:57
	ds_store_b128 v12, v[0:3] offset:12960
	s_waitcnt lgkmcnt(0)
	s_barrier
	buffer_gl0_inv
	s_and_saveexec_b32 s0, vcc_lo
	s_cbranch_execz .LBB0_32
; %bb.30:
	ds_load_b128 v[2:5], v60
	ds_load_b128 v[6:9], v60 offset:2160
	v_mov_b32_e32 v49, v51
	ds_load_b128 v[10:13], v60 offset:4320
	ds_load_b128 v[14:17], v60 offset:6480
	v_add_co_u32 v0, vcc_lo, s8, v52
	v_add_co_ci_u32_e32 v1, vcc_lo, s9, v53, vcc_lo
	v_lshlrev_b64 v[18:19], 4, v[48:49]
	s_delay_alu instid0(VALU_DEP_1) | instskip(NEXT) | instid1(VALU_DEP_2)
	v_add_co_u32 v34, vcc_lo, v0, v18
	v_add_co_ci_u32_e32 v35, vcc_lo, v1, v19, vcc_lo
	s_waitcnt lgkmcnt(3)
	global_store_b128 v[34:35], v[2:5], off
	s_waitcnt lgkmcnt(2)
	global_store_b128 v[34:35], v[6:9], off offset:2160
	v_add_co_u32 v36, vcc_lo, 0x1000, v34
	ds_load_b128 v[2:5], v60 offset:8640
	ds_load_b128 v[6:9], v60 offset:10800
	;; [unrolled: 1-line block ×6, first 2 shown]
	v_add_co_ci_u32_e32 v37, vcc_lo, 0, v35, vcc_lo
	s_waitcnt lgkmcnt(7)
	global_store_b128 v[36:37], v[10:13], off offset:224
	s_waitcnt lgkmcnt(6)
	global_store_b128 v[36:37], v[14:17], off offset:2384
	v_add_co_u32 v10, vcc_lo, 0x2000, v34
	v_add_co_ci_u32_e32 v11, vcc_lo, 0, v35, vcc_lo
	v_add_co_u32 v12, vcc_lo, 0x3000, v34
	v_add_co_ci_u32_e32 v13, vcc_lo, 0, v35, vcc_lo
	;; [unrolled: 2-line block ×3, first 2 shown]
	v_cmp_eq_u32_e32 vcc_lo, 0x86, v48
	s_waitcnt lgkmcnt(5)
	global_store_b128 v[10:11], v[2:5], off offset:448
	s_waitcnt lgkmcnt(4)
	global_store_b128 v[10:11], v[6:9], off offset:2608
	;; [unrolled: 2-line block ×6, first 2 shown]
	s_and_b32 exec_lo, exec_lo, vcc_lo
	s_cbranch_execz .LBB0_32
; %bb.31:
	v_mov_b32_e32 v2, 0
	v_add_co_u32 v0, vcc_lo, 0x5000, v0
	v_add_co_ci_u32_e32 v1, vcc_lo, 0, v1, vcc_lo
	ds_load_b128 v[2:5], v2 offset:21600
	s_waitcnt lgkmcnt(0)
	global_store_b128 v[0:1], v[2:5], off offset:1120
.LBB0_32:
	s_nop 0
	s_sendmsg sendmsg(MSG_DEALLOC_VGPRS)
	s_endpgm
	.section	.rodata,"a",@progbits
	.p2align	6, 0x0
	.amdhsa_kernel fft_rtc_back_len1350_factors_5_10_3_3_3_wgs_135_tpt_135_halfLds_dp_ip_CI_unitstride_sbrr_R2C_dirReg
		.amdhsa_group_segment_fixed_size 0
		.amdhsa_private_segment_fixed_size 0
		.amdhsa_kernarg_size 88
		.amdhsa_user_sgpr_count 15
		.amdhsa_user_sgpr_dispatch_ptr 0
		.amdhsa_user_sgpr_queue_ptr 0
		.amdhsa_user_sgpr_kernarg_segment_ptr 1
		.amdhsa_user_sgpr_dispatch_id 0
		.amdhsa_user_sgpr_private_segment_size 0
		.amdhsa_wavefront_size32 1
		.amdhsa_uses_dynamic_stack 0
		.amdhsa_enable_private_segment 0
		.amdhsa_system_sgpr_workgroup_id_x 1
		.amdhsa_system_sgpr_workgroup_id_y 0
		.amdhsa_system_sgpr_workgroup_id_z 0
		.amdhsa_system_sgpr_workgroup_info 0
		.amdhsa_system_vgpr_workitem_id 0
		.amdhsa_next_free_vgpr 109
		.amdhsa_next_free_sgpr 21
		.amdhsa_reserve_vcc 1
		.amdhsa_float_round_mode_32 0
		.amdhsa_float_round_mode_16_64 0
		.amdhsa_float_denorm_mode_32 3
		.amdhsa_float_denorm_mode_16_64 3
		.amdhsa_dx10_clamp 1
		.amdhsa_ieee_mode 1
		.amdhsa_fp16_overflow 0
		.amdhsa_workgroup_processor_mode 1
		.amdhsa_memory_ordered 1
		.amdhsa_forward_progress 0
		.amdhsa_shared_vgpr_count 0
		.amdhsa_exception_fp_ieee_invalid_op 0
		.amdhsa_exception_fp_denorm_src 0
		.amdhsa_exception_fp_ieee_div_zero 0
		.amdhsa_exception_fp_ieee_overflow 0
		.amdhsa_exception_fp_ieee_underflow 0
		.amdhsa_exception_fp_ieee_inexact 0
		.amdhsa_exception_int_div_zero 0
	.end_amdhsa_kernel
	.text
.Lfunc_end0:
	.size	fft_rtc_back_len1350_factors_5_10_3_3_3_wgs_135_tpt_135_halfLds_dp_ip_CI_unitstride_sbrr_R2C_dirReg, .Lfunc_end0-fft_rtc_back_len1350_factors_5_10_3_3_3_wgs_135_tpt_135_halfLds_dp_ip_CI_unitstride_sbrr_R2C_dirReg
                                        ; -- End function
	.section	.AMDGPU.csdata,"",@progbits
; Kernel info:
; codeLenInByte = 10692
; NumSgprs: 23
; NumVgprs: 109
; ScratchSize: 0
; MemoryBound: 0
; FloatMode: 240
; IeeeMode: 1
; LDSByteSize: 0 bytes/workgroup (compile time only)
; SGPRBlocks: 2
; VGPRBlocks: 13
; NumSGPRsForWavesPerEU: 23
; NumVGPRsForWavesPerEU: 109
; Occupancy: 12
; WaveLimiterHint : 1
; COMPUTE_PGM_RSRC2:SCRATCH_EN: 0
; COMPUTE_PGM_RSRC2:USER_SGPR: 15
; COMPUTE_PGM_RSRC2:TRAP_HANDLER: 0
; COMPUTE_PGM_RSRC2:TGID_X_EN: 1
; COMPUTE_PGM_RSRC2:TGID_Y_EN: 0
; COMPUTE_PGM_RSRC2:TGID_Z_EN: 0
; COMPUTE_PGM_RSRC2:TIDIG_COMP_CNT: 0
	.text
	.p2alignl 7, 3214868480
	.fill 96, 4, 3214868480
	.type	__hip_cuid_74d37f0930238a90,@object ; @__hip_cuid_74d37f0930238a90
	.section	.bss,"aw",@nobits
	.globl	__hip_cuid_74d37f0930238a90
__hip_cuid_74d37f0930238a90:
	.byte	0                               ; 0x0
	.size	__hip_cuid_74d37f0930238a90, 1

	.ident	"AMD clang version 19.0.0git (https://github.com/RadeonOpenCompute/llvm-project roc-6.4.0 25133 c7fe45cf4b819c5991fe208aaa96edf142730f1d)"
	.section	".note.GNU-stack","",@progbits
	.addrsig
	.addrsig_sym __hip_cuid_74d37f0930238a90
	.amdgpu_metadata
---
amdhsa.kernels:
  - .args:
      - .actual_access:  read_only
        .address_space:  global
        .offset:         0
        .size:           8
        .value_kind:     global_buffer
      - .offset:         8
        .size:           8
        .value_kind:     by_value
      - .actual_access:  read_only
        .address_space:  global
        .offset:         16
        .size:           8
        .value_kind:     global_buffer
      - .actual_access:  read_only
        .address_space:  global
        .offset:         24
        .size:           8
        .value_kind:     global_buffer
      - .offset:         32
        .size:           8
        .value_kind:     by_value
      - .actual_access:  read_only
        .address_space:  global
        .offset:         40
        .size:           8
        .value_kind:     global_buffer
      - .actual_access:  read_only
        .address_space:  global
        .offset:         48
        .size:           8
        .value_kind:     global_buffer
      - .offset:         56
        .size:           4
        .value_kind:     by_value
      - .actual_access:  read_only
        .address_space:  global
        .offset:         64
        .size:           8
        .value_kind:     global_buffer
      - .actual_access:  read_only
        .address_space:  global
        .offset:         72
        .size:           8
        .value_kind:     global_buffer
      - .address_space:  global
        .offset:         80
        .size:           8
        .value_kind:     global_buffer
    .group_segment_fixed_size: 0
    .kernarg_segment_align: 8
    .kernarg_segment_size: 88
    .language:       OpenCL C
    .language_version:
      - 2
      - 0
    .max_flat_workgroup_size: 135
    .name:           fft_rtc_back_len1350_factors_5_10_3_3_3_wgs_135_tpt_135_halfLds_dp_ip_CI_unitstride_sbrr_R2C_dirReg
    .private_segment_fixed_size: 0
    .sgpr_count:     23
    .sgpr_spill_count: 0
    .symbol:         fft_rtc_back_len1350_factors_5_10_3_3_3_wgs_135_tpt_135_halfLds_dp_ip_CI_unitstride_sbrr_R2C_dirReg.kd
    .uniform_work_group_size: 1
    .uses_dynamic_stack: false
    .vgpr_count:     109
    .vgpr_spill_count: 0
    .wavefront_size: 32
    .workgroup_processor_mode: 1
amdhsa.target:   amdgcn-amd-amdhsa--gfx1100
amdhsa.version:
  - 1
  - 2
...

	.end_amdgpu_metadata
